;; amdgpu-corpus repo=ROCm/rocFFT kind=compiled arch=gfx906 opt=O3
	.text
	.amdgcn_target "amdgcn-amd-amdhsa--gfx906"
	.amdhsa_code_object_version 6
	.protected	fft_rtc_back_len1944_factors_3_3_3_3_8_3_wgs_243_tpt_243_halfLds_dp_ip_CI_unitstride_sbrr_dirReg ; -- Begin function fft_rtc_back_len1944_factors_3_3_3_3_8_3_wgs_243_tpt_243_halfLds_dp_ip_CI_unitstride_sbrr_dirReg
	.globl	fft_rtc_back_len1944_factors_3_3_3_3_8_3_wgs_243_tpt_243_halfLds_dp_ip_CI_unitstride_sbrr_dirReg
	.p2align	8
	.type	fft_rtc_back_len1944_factors_3_3_3_3_8_3_wgs_243_tpt_243_halfLds_dp_ip_CI_unitstride_sbrr_dirReg,@function
fft_rtc_back_len1944_factors_3_3_3_3_8_3_wgs_243_tpt_243_halfLds_dp_ip_CI_unitstride_sbrr_dirReg: ; @fft_rtc_back_len1944_factors_3_3_3_3_8_3_wgs_243_tpt_243_halfLds_dp_ip_CI_unitstride_sbrr_dirReg
; %bb.0:
	s_load_dwordx2 s[12:13], s[4:5], 0x50
	s_load_dwordx4 s[8:11], s[4:5], 0x0
	s_load_dwordx2 s[2:3], s[4:5], 0x18
	v_mul_u32_u24_e32 v1, 0x10e, v0
	v_add_u32_sdwa v5, s6, v1 dst_sel:DWORD dst_unused:UNUSED_PAD src0_sel:DWORD src1_sel:WORD_1
	v_mov_b32_e32 v3, 0
	s_waitcnt lgkmcnt(0)
	v_cmp_lt_u64_e64 s[0:1], s[10:11], 2
	v_mov_b32_e32 v1, 0
	v_mov_b32_e32 v6, v3
	s_and_b64 vcc, exec, s[0:1]
	v_mov_b32_e32 v2, 0
	s_cbranch_vccnz .LBB0_8
; %bb.1:
	s_load_dwordx2 s[0:1], s[4:5], 0x10
	s_add_u32 s6, s2, 8
	s_addc_u32 s7, s3, 0
	v_mov_b32_e32 v1, 0
	v_mov_b32_e32 v2, 0
	s_waitcnt lgkmcnt(0)
	s_add_u32 s14, s0, 8
	s_addc_u32 s15, s1, 0
	s_mov_b64 s[16:17], 1
.LBB0_2:                                ; =>This Inner Loop Header: Depth=1
	s_load_dwordx2 s[18:19], s[14:15], 0x0
                                        ; implicit-def: $vgpr7_vgpr8
	s_waitcnt lgkmcnt(0)
	v_or_b32_e32 v4, s19, v6
	v_cmp_ne_u64_e32 vcc, 0, v[3:4]
	s_and_saveexec_b64 s[0:1], vcc
	s_xor_b64 s[20:21], exec, s[0:1]
	s_cbranch_execz .LBB0_4
; %bb.3:                                ;   in Loop: Header=BB0_2 Depth=1
	v_cvt_f32_u32_e32 v4, s18
	v_cvt_f32_u32_e32 v7, s19
	s_sub_u32 s0, 0, s18
	s_subb_u32 s1, 0, s19
	v_mac_f32_e32 v4, 0x4f800000, v7
	v_rcp_f32_e32 v4, v4
	v_mul_f32_e32 v4, 0x5f7ffffc, v4
	v_mul_f32_e32 v7, 0x2f800000, v4
	v_trunc_f32_e32 v7, v7
	v_mac_f32_e32 v4, 0xcf800000, v7
	v_cvt_u32_f32_e32 v7, v7
	v_cvt_u32_f32_e32 v4, v4
	v_mul_lo_u32 v8, s0, v7
	v_mul_hi_u32 v9, s0, v4
	v_mul_lo_u32 v11, s1, v4
	v_mul_lo_u32 v10, s0, v4
	v_add_u32_e32 v8, v9, v8
	v_add_u32_e32 v8, v8, v11
	v_mul_hi_u32 v9, v4, v10
	v_mul_lo_u32 v11, v4, v8
	v_mul_hi_u32 v13, v4, v8
	v_mul_hi_u32 v12, v7, v10
	v_mul_lo_u32 v10, v7, v10
	v_mul_hi_u32 v14, v7, v8
	v_add_co_u32_e32 v9, vcc, v9, v11
	v_addc_co_u32_e32 v11, vcc, 0, v13, vcc
	v_mul_lo_u32 v8, v7, v8
	v_add_co_u32_e32 v9, vcc, v9, v10
	v_addc_co_u32_e32 v9, vcc, v11, v12, vcc
	v_addc_co_u32_e32 v10, vcc, 0, v14, vcc
	v_add_co_u32_e32 v8, vcc, v9, v8
	v_addc_co_u32_e32 v9, vcc, 0, v10, vcc
	v_add_co_u32_e32 v4, vcc, v4, v8
	v_addc_co_u32_e32 v7, vcc, v7, v9, vcc
	v_mul_lo_u32 v8, s0, v7
	v_mul_hi_u32 v9, s0, v4
	v_mul_lo_u32 v10, s1, v4
	v_mul_lo_u32 v11, s0, v4
	v_add_u32_e32 v8, v9, v8
	v_add_u32_e32 v8, v8, v10
	v_mul_lo_u32 v12, v4, v8
	v_mul_hi_u32 v13, v4, v11
	v_mul_hi_u32 v14, v4, v8
	;; [unrolled: 1-line block ×3, first 2 shown]
	v_mul_lo_u32 v11, v7, v11
	v_mul_hi_u32 v9, v7, v8
	v_add_co_u32_e32 v12, vcc, v13, v12
	v_addc_co_u32_e32 v13, vcc, 0, v14, vcc
	v_mul_lo_u32 v8, v7, v8
	v_add_co_u32_e32 v11, vcc, v12, v11
	v_addc_co_u32_e32 v10, vcc, v13, v10, vcc
	v_addc_co_u32_e32 v9, vcc, 0, v9, vcc
	v_add_co_u32_e32 v8, vcc, v10, v8
	v_addc_co_u32_e32 v9, vcc, 0, v9, vcc
	v_add_co_u32_e32 v4, vcc, v4, v8
	v_addc_co_u32_e32 v9, vcc, v7, v9, vcc
	v_mad_u64_u32 v[7:8], s[0:1], v5, v9, 0
	v_mul_hi_u32 v10, v5, v4
	v_add_co_u32_e32 v11, vcc, v10, v7
	v_addc_co_u32_e32 v12, vcc, 0, v8, vcc
	v_mad_u64_u32 v[7:8], s[0:1], v6, v4, 0
	v_mad_u64_u32 v[9:10], s[0:1], v6, v9, 0
	v_add_co_u32_e32 v4, vcc, v11, v7
	v_addc_co_u32_e32 v4, vcc, v12, v8, vcc
	v_addc_co_u32_e32 v7, vcc, 0, v10, vcc
	v_add_co_u32_e32 v4, vcc, v4, v9
	v_addc_co_u32_e32 v9, vcc, 0, v7, vcc
	v_mul_lo_u32 v10, s19, v4
	v_mul_lo_u32 v11, s18, v9
	v_mad_u64_u32 v[7:8], s[0:1], s18, v4, 0
	v_add3_u32 v8, v8, v11, v10
	v_sub_u32_e32 v10, v6, v8
	v_mov_b32_e32 v11, s19
	v_sub_co_u32_e32 v7, vcc, v5, v7
	v_subb_co_u32_e64 v10, s[0:1], v10, v11, vcc
	v_subrev_co_u32_e64 v11, s[0:1], s18, v7
	v_subbrev_co_u32_e64 v10, s[0:1], 0, v10, s[0:1]
	v_cmp_le_u32_e64 s[0:1], s19, v10
	v_cndmask_b32_e64 v12, 0, -1, s[0:1]
	v_cmp_le_u32_e64 s[0:1], s18, v11
	v_cndmask_b32_e64 v11, 0, -1, s[0:1]
	v_cmp_eq_u32_e64 s[0:1], s19, v10
	v_cndmask_b32_e64 v10, v12, v11, s[0:1]
	v_add_co_u32_e64 v11, s[0:1], 2, v4
	v_addc_co_u32_e64 v12, s[0:1], 0, v9, s[0:1]
	v_add_co_u32_e64 v13, s[0:1], 1, v4
	v_addc_co_u32_e64 v14, s[0:1], 0, v9, s[0:1]
	v_subb_co_u32_e32 v8, vcc, v6, v8, vcc
	v_cmp_ne_u32_e64 s[0:1], 0, v10
	v_cmp_le_u32_e32 vcc, s19, v8
	v_cndmask_b32_e64 v10, v14, v12, s[0:1]
	v_cndmask_b32_e64 v12, 0, -1, vcc
	v_cmp_le_u32_e32 vcc, s18, v7
	v_cndmask_b32_e64 v7, 0, -1, vcc
	v_cmp_eq_u32_e32 vcc, s19, v8
	v_cndmask_b32_e32 v7, v12, v7, vcc
	v_cmp_ne_u32_e32 vcc, 0, v7
	v_cndmask_b32_e64 v7, v13, v11, s[0:1]
	v_cndmask_b32_e32 v8, v9, v10, vcc
	v_cndmask_b32_e32 v7, v4, v7, vcc
.LBB0_4:                                ;   in Loop: Header=BB0_2 Depth=1
	s_andn2_saveexec_b64 s[0:1], s[20:21]
	s_cbranch_execz .LBB0_6
; %bb.5:                                ;   in Loop: Header=BB0_2 Depth=1
	v_cvt_f32_u32_e32 v4, s18
	s_sub_i32 s20, 0, s18
	v_rcp_iflag_f32_e32 v4, v4
	v_mul_f32_e32 v4, 0x4f7ffffe, v4
	v_cvt_u32_f32_e32 v4, v4
	v_mul_lo_u32 v7, s20, v4
	v_mul_hi_u32 v7, v4, v7
	v_add_u32_e32 v4, v4, v7
	v_mul_hi_u32 v4, v5, v4
	v_mul_lo_u32 v7, v4, s18
	v_add_u32_e32 v8, 1, v4
	v_sub_u32_e32 v7, v5, v7
	v_subrev_u32_e32 v9, s18, v7
	v_cmp_le_u32_e32 vcc, s18, v7
	v_cndmask_b32_e32 v7, v7, v9, vcc
	v_cndmask_b32_e32 v4, v4, v8, vcc
	v_add_u32_e32 v8, 1, v4
	v_cmp_le_u32_e32 vcc, s18, v7
	v_cndmask_b32_e32 v7, v4, v8, vcc
	v_mov_b32_e32 v8, v3
.LBB0_6:                                ;   in Loop: Header=BB0_2 Depth=1
	s_or_b64 exec, exec, s[0:1]
	v_mul_lo_u32 v4, v8, s18
	v_mul_lo_u32 v11, v7, s19
	v_mad_u64_u32 v[9:10], s[0:1], v7, s18, 0
	s_load_dwordx2 s[0:1], s[6:7], 0x0
	s_add_u32 s16, s16, 1
	v_add3_u32 v4, v10, v11, v4
	v_sub_co_u32_e32 v5, vcc, v5, v9
	v_subb_co_u32_e32 v4, vcc, v6, v4, vcc
	s_waitcnt lgkmcnt(0)
	v_mul_lo_u32 v4, s0, v4
	v_mul_lo_u32 v6, s1, v5
	v_mad_u64_u32 v[1:2], s[0:1], s0, v5, v[1:2]
	s_addc_u32 s17, s17, 0
	s_add_u32 s6, s6, 8
	v_add3_u32 v2, v6, v2, v4
	v_mov_b32_e32 v4, s10
	v_mov_b32_e32 v5, s11
	s_addc_u32 s7, s7, 0
	v_cmp_ge_u64_e32 vcc, s[16:17], v[4:5]
	s_add_u32 s14, s14, 8
	s_addc_u32 s15, s15, 0
	s_cbranch_vccnz .LBB0_9
; %bb.7:                                ;   in Loop: Header=BB0_2 Depth=1
	v_mov_b32_e32 v5, v7
	v_mov_b32_e32 v6, v8
	s_branch .LBB0_2
.LBB0_8:
	v_mov_b32_e32 v8, v6
	v_mov_b32_e32 v7, v5
.LBB0_9:
	s_lshl_b64 s[0:1], s[10:11], 3
	s_add_u32 s0, s2, s0
	s_addc_u32 s1, s3, s1
	s_load_dwordx2 s[2:3], s[0:1], 0x0
	s_load_dwordx2 s[6:7], s[4:5], 0x20
                                        ; implicit-def: $vgpr18_vgpr19
                                        ; implicit-def: $vgpr22_vgpr23
                                        ; implicit-def: $vgpr30_vgpr31
                                        ; implicit-def: $vgpr38_vgpr39
                                        ; implicit-def: $vgpr46_vgpr47
                                        ; implicit-def: $vgpr42_vgpr43
                                        ; implicit-def: $vgpr26_vgpr27
                                        ; implicit-def: $vgpr34_vgpr35
	s_waitcnt lgkmcnt(0)
	v_mad_u64_u32 v[1:2], s[0:1], s2, v7, v[1:2]
	v_mul_lo_u32 v3, s2, v8
	v_mul_lo_u32 v4, s3, v7
	s_mov_b32 s0, 0x10db20b
	v_mul_hi_u32 v5, v0, s0
	v_cmp_gt_u64_e64 s[0:1], s[6:7], v[7:8]
	v_add3_u32 v2, v4, v2, v3
	v_lshlrev_b64 v[50:51], 4, v[1:2]
	v_mul_u32_u24_e32 v3, 0xf3, v5
	v_sub_u32_e32 v48, v0, v3
                                        ; implicit-def: $vgpr2_vgpr3
	s_and_saveexec_b64 s[2:3], s[0:1]
	s_cbranch_execz .LBB0_13
; %bb.10:
	v_mov_b32_e32 v49, 0
	v_mov_b32_e32 v0, s13
	v_add_co_u32_e32 v2, vcc, s12, v50
	v_addc_co_u32_e32 v3, vcc, v0, v51, vcc
	v_lshlrev_b64 v[0:1], 4, v[48:49]
	s_movk_i32 s4, 0xa2
	v_add_co_u32_e32 v4, vcc, v2, v0
	v_addc_co_u32_e32 v5, vcc, v3, v1, vcc
	v_add_co_u32_e32 v6, vcc, 0x2000, v4
	v_addc_co_u32_e32 v7, vcc, 0, v5, vcc
	;; [unrolled: 2-line block ×3, first 2 shown]
	global_load_dwordx4 v[16:19], v[6:7], off offset:2176
	global_load_dwordx4 v[0:3], v[8:9], off offset:256
	v_add_co_u32_e32 v6, vcc, 0x3000, v4
	v_addc_co_u32_e32 v7, vcc, 0, v5, vcc
	v_add_co_u32_e32 v8, vcc, 0x6000, v4
	v_addc_co_u32_e32 v9, vcc, 0, v5, vcc
	global_load_dwordx4 v[28:31], v[6:7], off offset:1968
	global_load_dwordx4 v[24:27], v[8:9], off offset:48
	global_load_dwordx4 v[32:35], v[4:5], off
	global_load_dwordx4 v[20:23], v[4:5], off offset:3888
	v_cmp_gt_u32_e32 vcc, s4, v48
                                        ; implicit-def: $vgpr40_vgpr41
                                        ; implicit-def: $vgpr44_vgpr45
                                        ; implicit-def: $vgpr36_vgpr37
	s_and_saveexec_b64 s[4:5], vcc
	s_cbranch_execz .LBB0_12
; %bb.11:
	v_add_co_u32_e32 v6, vcc, 0x1000, v4
	v_addc_co_u32_e32 v7, vcc, 0, v5, vcc
	v_add_co_u32_e32 v8, vcc, 0x4000, v4
	v_addc_co_u32_e32 v9, vcc, 0, v5, vcc
	;; [unrolled: 2-line block ×3, first 2 shown]
	global_load_dwordx4 v[36:39], v[6:7], off offset:3680
	global_load_dwordx4 v[40:43], v[8:9], off offset:1760
	;; [unrolled: 1-line block ×3, first 2 shown]
.LBB0_12:
	s_or_b64 exec, exec, s[4:5]
.LBB0_13:
	s_or_b64 exec, exec, s[2:3]
	s_waitcnt vmcnt(2)
	v_add_f64 v[4:5], v[28:29], v[24:25]
	v_add_f64 v[8:9], v[16:17], v[0:1]
	s_waitcnt vmcnt(0)
	v_add_f64 v[14:15], v[44:45], v[40:41]
	v_add_f64 v[6:7], v[20:21], v[28:29]
	v_add_f64 v[10:11], v[30:31], -v[26:27]
	v_add_f64 v[12:13], v[16:17], v[32:33]
	v_add_f64 v[52:53], v[18:19], -v[2:3]
	v_add_f64 v[56:57], v[36:37], v[40:41]
	v_fma_f64 v[4:5], v[4:5], -0.5, v[20:21]
	v_fma_f64 v[8:9], v[8:9], -0.5, v[32:33]
	v_add_f64 v[32:33], v[42:43], -v[46:47]
	v_fma_f64 v[14:15], v[14:15], -0.5, v[36:37]
	s_mov_b32 s2, 0xe8584caa
	s_mov_b32 s3, 0xbfebb67a
	;; [unrolled: 1-line block ×4, first 2 shown]
	v_add_f64 v[6:7], v[6:7], v[24:25]
	v_fma_f64 v[54:55], v[10:11], s[2:3], v[4:5]
	v_fma_f64 v[58:59], v[52:53], s[2:3], v[8:9]
	;; [unrolled: 1-line block ×5, first 2 shown]
	v_add_f64 v[32:33], v[44:45], v[56:57]
	v_add_f64 v[12:13], v[0:1], v[12:13]
	v_fma_f64 v[4:5], v[10:11], s[4:5], v[4:5]
	v_mad_u32_u24 v20, v48, 24, 0
	s_movk_i32 s2, 0xa2
	v_add_u32_e32 v10, 0x16c8, v20
	v_cmp_gt_u32_e64 s[2:3], s2, v48
	ds_write2_b64 v10, v[6:7], v[54:55] offset1:1
	ds_write2_b64 v20, v[12:13], v[58:59] offset1:1
	ds_write_b64 v20, v[8:9] offset:16
	ds_write_b64 v20, v[4:5] offset:5848
	s_and_saveexec_b64 s[4:5], s[2:3]
	s_cbranch_execz .LBB0_15
; %bb.14:
	v_add_u32_e32 v4, 0x2d90, v20
	ds_write2_b64 v4, v[32:33], v[36:37] offset1:1
	ds_write_b64 v20, v[52:53] offset:11680
.LBB0_15:
	s_or_b64 exec, exec, s[4:5]
	v_lshlrev_b32_e32 v4, 4, v48
	v_sub_u32_e32 v49, v20, v4
	v_add_u32_e32 v8, 0x1400, v49
	v_add_u32_e32 v12, 0x2880, v49
	s_waitcnt lgkmcnt(0)
	s_barrier
	ds_read2_b64 v[4:7], v49 offset1:243
	ds_read2_b64 v[8:11], v8 offset0:8 offset1:251
	ds_read2_b64 v[12:15], v12 offset1:243
	s_and_saveexec_b64 s[4:5], s[2:3]
	s_cbranch_execz .LBB0_17
; %bb.16:
	ds_read_b64 v[32:33], v49 offset:3888
	ds_read_b64 v[36:37], v49 offset:9072
	;; [unrolled: 1-line block ×3, first 2 shown]
.LBB0_17:
	s_or_b64 exec, exec, s[4:5]
	v_add_f64 v[54:55], v[18:19], v[2:3]
	v_add_f64 v[18:19], v[18:19], v[34:35]
	v_add_f64 v[0:1], v[16:17], -v[0:1]
	v_add_f64 v[16:17], v[30:31], v[26:27]
	v_add_f64 v[56:57], v[46:47], v[42:43]
	;; [unrolled: 1-line block ×3, first 2 shown]
	v_add_f64 v[24:25], v[28:29], -v[24:25]
	v_add_f64 v[28:29], v[38:39], v[42:43]
	v_fma_f64 v[34:35], v[54:55], -0.5, v[34:35]
	v_add_f64 v[2:3], v[2:3], v[18:19]
	s_mov_b32 s4, 0xe8584caa
	v_fma_f64 v[16:17], v[16:17], -0.5, v[22:23]
	v_add_f64 v[21:22], v[40:41], -v[44:45]
	v_fma_f64 v[18:19], v[56:57], -0.5, v[38:39]
	s_mov_b32 s5, 0x3febb67a
	s_mov_b32 s7, 0xbfebb67a
	v_fma_f64 v[38:39], v[0:1], s[4:5], v[34:35]
	s_mov_b32 s6, s4
	v_fma_f64 v[0:1], v[0:1], s[6:7], v[34:35]
	v_add_f64 v[30:31], v[30:31], v[26:27]
	v_fma_f64 v[34:35], v[24:25], s[4:5], v[16:17]
	v_fma_f64 v[16:17], v[24:25], s[6:7], v[16:17]
	v_add_f64 v[28:29], v[46:47], v[28:29]
	v_fma_f64 v[26:27], v[21:22], s[4:5], v[18:19]
	v_fma_f64 v[24:25], v[21:22], s[6:7], v[18:19]
	s_waitcnt lgkmcnt(0)
	s_barrier
	ds_write2_b64 v20, v[2:3], v[38:39] offset1:1
	ds_write_b64 v20, v[0:1] offset:16
	v_add_u32_e32 v0, 0x16c8, v20
	ds_write2_b64 v0, v[30:31], v[34:35] offset1:1
	ds_write_b64 v20, v[16:17] offset:5848
	s_and_saveexec_b64 s[4:5], s[2:3]
	s_cbranch_execz .LBB0_19
; %bb.18:
	v_add_u32_e32 v0, 0x2d90, v20
	ds_write2_b64 v0, v[28:29], v[26:27] offset1:1
	ds_write_b64 v20, v[24:25] offset:11680
.LBB0_19:
	s_or_b64 exec, exec, s[4:5]
	v_add_u32_e32 v16, 0x1400, v49
	v_add_u32_e32 v20, 0x2880, v49
	s_waitcnt lgkmcnt(0)
	s_barrier
	ds_read2_b64 v[0:3], v49 offset1:243
	ds_read2_b64 v[16:19], v16 offset0:8 offset1:251
	ds_read2_b64 v[20:23], v20 offset1:243
	s_and_saveexec_b64 s[4:5], s[2:3]
	s_cbranch_execz .LBB0_21
; %bb.20:
	ds_read_b64 v[28:29], v49 offset:3888
	ds_read_b64 v[26:27], v49 offset:9072
	ds_read_b64 v[24:25], v49 offset:14256
.LBB0_21:
	s_or_b64 exec, exec, s[4:5]
	s_movk_i32 s4, 0xab
	v_mul_lo_u16_sdwa v30, v48, s4 dst_sel:DWORD dst_unused:UNUSED_PAD src0_sel:BYTE_0 src1_sel:DWORD
	v_lshrrev_b16_e32 v30, 9, v30
	v_mul_lo_u16_e32 v31, 3, v30
	v_sub_u16_e32 v31, v48, v31
	v_mov_b32_e32 v34, 5
	v_add_u32_e32 v57, 0xf3, v48
	v_lshlrev_b32_sdwa v34, v34, v31 dst_sel:DWORD dst_unused:UNUSED_PAD src0_sel:DWORD src1_sel:BYTE_0
	s_mov_b32 s4, 0xaaab
	global_load_dwordx4 v[38:41], v34, s[8:9] offset:16
	global_load_dwordx4 v[44:47], v34, s[8:9]
	v_mul_u32_u24_sdwa v34, v57, s4 dst_sel:DWORD dst_unused:UNUSED_PAD src0_sel:WORD_0 src1_sel:DWORD
	v_lshrrev_b32_e32 v34, 17, v34
	v_mul_lo_u16_e32 v35, 3, v34
	v_sub_u16_e32 v35, v57, v35
	v_add_u32_e32 v56, 0x1e6, v48
	v_lshlrev_b32_e32 v42, 5, v35
	global_load_dwordx4 v[60:63], v42, s[8:9] offset:16
	global_load_dwordx4 v[64:67], v42, s[8:9]
	v_mul_u32_u24_sdwa v42, v56, s4 dst_sel:DWORD dst_unused:UNUSED_PAD src0_sel:WORD_0 src1_sel:DWORD
	v_lshrrev_b32_e32 v42, 17, v42
	v_mul_lo_u16_e32 v43, 3, v42
	v_sub_u16_e32 v58, v56, v43
	v_lshlrev_b32_e32 v43, 5, v58
	global_load_dwordx4 v[68:71], v43, s[8:9]
	global_load_dwordx4 v[72:75], v43, s[8:9] offset:16
	v_mov_b32_e32 v43, 3
	v_mul_u32_u24_e32 v80, 0x48, v30
	v_mul_u32_u24_e32 v81, 0x48, v34
	v_lshlrev_b32_sdwa v82, v43, v31 dst_sel:DWORD dst_unused:UNUSED_PAD src0_sel:DWORD src1_sel:BYTE_0
	v_lshlrev_b32_e32 v83, 3, v35
	v_mul_lo_u16_e32 v59, 9, v42
	s_mov_b32 s4, 0xe8584caa
	s_mov_b32 s5, 0xbfebb67a
	;; [unrolled: 1-line block ×4, first 2 shown]
	s_waitcnt vmcnt(0) lgkmcnt(0)
	s_barrier
	v_mul_f64 v[54:55], v[20:21], v[40:41]
	v_mul_f64 v[30:31], v[16:17], v[46:47]
	;; [unrolled: 1-line block ×6, first 2 shown]
	v_fma_f64 v[42:43], v[8:9], v[44:45], v[30:31]
	v_fma_f64 v[46:47], v[16:17], v[44:45], -v[34:35]
	v_fma_f64 v[44:45], v[12:13], v[38:39], v[54:55]
	v_mul_f64 v[66:67], v[10:11], v[66:67]
	v_mul_f64 v[8:9], v[26:27], v[70:71]
	;; [unrolled: 1-line block ×5, first 2 shown]
	v_fma_f64 v[54:55], v[20:21], v[38:39], -v[40:41]
	v_mul_f64 v[30:31], v[52:53], v[74:75]
	v_fma_f64 v[34:35], v[10:11], v[64:65], v[76:77]
	v_fma_f64 v[38:39], v[14:15], v[60:61], v[78:79]
	;; [unrolled: 1-line block ×4, first 2 shown]
	v_fma_f64 v[20:21], v[26:27], v[68:69], -v[12:13]
	v_add_f64 v[12:13], v[42:43], v[44:45]
	v_fma_f64 v[36:37], v[18:19], v[64:65], -v[66:67]
	v_fma_f64 v[40:41], v[22:23], v[60:61], -v[62:63]
	;; [unrolled: 1-line block ×3, first 2 shown]
	v_add_f64 v[14:15], v[34:35], v[38:39]
	v_add_f64 v[16:17], v[4:5], v[42:43]
	;; [unrolled: 1-line block ×3, first 2 shown]
	v_add_f64 v[26:27], v[46:47], -v[54:55]
	v_fma_f64 v[4:5], v[12:13], -0.5, v[4:5]
	v_add_f64 v[24:25], v[6:7], v[34:35]
	v_add_f64 v[30:31], v[32:33], v[8:9]
	v_add_f64 v[12:13], v[36:37], -v[40:41]
	v_fma_f64 v[6:7], v[14:15], -0.5, v[6:7]
	v_add_f64 v[14:15], v[20:21], -v[22:23]
	v_fma_f64 v[18:19], v[18:19], -0.5, v[32:33]
	v_add_f64 v[16:17], v[16:17], v[44:45]
	v_fma_f64 v[62:63], v[26:27], s[4:5], v[4:5]
	v_add_f64 v[60:61], v[24:25], v[38:39]
	v_add_f64 v[24:25], v[30:31], v[10:11]
	v_fma_f64 v[4:5], v[26:27], s[6:7], v[4:5]
	v_fma_f64 v[26:27], v[12:13], s[4:5], v[6:7]
	;; [unrolled: 1-line block ×5, first 2 shown]
	v_add3_u32 v53, 0, v80, v82
	v_add3_u32 v52, 0, v81, v83
	ds_write2_b64 v53, v[16:17], v[62:63] offset1:3
	ds_write_b64 v53, v[4:5] offset:48
	ds_write2_b64 v52, v[60:61], v[26:27] offset1:3
	ds_write_b64 v52, v[6:7] offset:48
	v_lshlrev_b32_e32 v60, 3, v58
	s_and_saveexec_b64 s[4:5], s[2:3]
	s_cbranch_execz .LBB0_23
; %bb.22:
	v_lshlrev_b32_e32 v4, 3, v59
	v_add3_u32 v4, 0, v60, v4
	ds_write2_b64 v4, v[24:25], v[30:31] offset1:3
	ds_write_b64 v4, v[32:33] offset:48
.LBB0_23:
	s_or_b64 exec, exec, s[4:5]
	v_add_u32_e32 v12, 0x1400, v49
	s_waitcnt lgkmcnt(0)
	s_barrier
	ds_read2_b64 v[16:19], v12 offset0:8 offset1:251
	v_add_u32_e32 v12, 0x2880, v49
	ds_read2_b64 v[4:7], v49 offset1:243
	ds_read2_b64 v[12:15], v12 offset1:243
	v_lshl_add_u32 v58, v48, 3, 0
	s_and_saveexec_b64 s[4:5], s[2:3]
	s_cbranch_execz .LBB0_25
; %bb.24:
	ds_read_b64 v[30:31], v49 offset:9072
	ds_read_b64 v[24:25], v58 offset:3888
	;; [unrolled: 1-line block ×3, first 2 shown]
.LBB0_25:
	s_or_b64 exec, exec, s[4:5]
	v_add_f64 v[26:27], v[0:1], v[46:47]
	s_mov_b32 s4, 0xe8584caa
	s_mov_b32 s5, 0x3febb67a
	;; [unrolled: 1-line block ×4, first 2 shown]
	v_add_f64 v[8:9], v[8:9], -v[10:11]
	s_waitcnt lgkmcnt(0)
	s_barrier
	v_add_f64 v[61:62], v[26:27], v[54:55]
	v_add_f64 v[26:27], v[46:47], v[54:55]
	v_fma_f64 v[0:1], v[26:27], -0.5, v[0:1]
	v_add_f64 v[26:27], v[42:43], -v[44:45]
	v_fma_f64 v[42:43], v[26:27], s[4:5], v[0:1]
	v_fma_f64 v[0:1], v[26:27], s[6:7], v[0:1]
	v_add_f64 v[26:27], v[2:3], v[36:37]
	v_add_f64 v[44:45], v[26:27], v[40:41]
	v_add_f64 v[26:27], v[36:37], v[40:41]
	v_fma_f64 v[2:3], v[26:27], -0.5, v[2:3]
	v_add_f64 v[26:27], v[34:35], -v[38:39]
	v_fma_f64 v[36:37], v[26:27], s[4:5], v[2:3]
	v_fma_f64 v[2:3], v[26:27], s[6:7], v[2:3]
	v_add_f64 v[26:27], v[28:29], v[20:21]
	v_add_f64 v[20:21], v[20:21], v[22:23]
	ds_write2_b64 v53, v[61:62], v[42:43] offset1:3
	ds_write_b64 v53, v[0:1] offset:48
	ds_write2_b64 v52, v[44:45], v[36:37] offset1:3
	ds_write_b64 v52, v[2:3] offset:48
	v_add_f64 v[26:27], v[26:27], v[22:23]
	v_fma_f64 v[20:21], v[20:21], -0.5, v[28:29]
	v_fma_f64 v[34:35], v[8:9], s[4:5], v[20:21]
	v_fma_f64 v[28:29], v[8:9], s[6:7], v[20:21]
	s_and_saveexec_b64 s[4:5], s[2:3]
	s_cbranch_execz .LBB0_27
; %bb.26:
	v_lshlrev_b32_e32 v0, 3, v59
	v_add3_u32 v0, 0, v60, v0
	ds_write2_b64 v0, v[26:27], v[34:35] offset1:3
	ds_write_b64 v0, v[28:29] offset:48
.LBB0_27:
	s_or_b64 exec, exec, s[4:5]
	v_add_u32_e32 v8, 0x1400, v49
	s_waitcnt lgkmcnt(0)
	s_barrier
	ds_read2_b64 v[20:23], v8 offset0:8 offset1:251
	v_add_u32_e32 v8, 0x2880, v49
	ds_read2_b64 v[0:3], v49 offset1:243
	ds_read2_b64 v[8:11], v8 offset1:243
	s_and_saveexec_b64 s[4:5], s[2:3]
	s_cbranch_execz .LBB0_29
; %bb.28:
	ds_read_b64 v[34:35], v49 offset:9072
	ds_read_b64 v[26:27], v58 offset:3888
	;; [unrolled: 1-line block ×3, first 2 shown]
.LBB0_29:
	s_or_b64 exec, exec, s[4:5]
	v_mov_b32_e32 v36, 57
	v_mul_lo_u16_sdwa v36, v48, v36 dst_sel:DWORD dst_unused:UNUSED_PAD src0_sel:BYTE_0 src1_sel:DWORD
	v_lshrrev_b16_e32 v71, 9, v36
	v_mul_lo_u16_e32 v36, 9, v71
	v_sub_u16_e32 v72, v48, v36
	v_mov_b32_e32 v36, 5
	v_lshlrev_b32_sdwa v52, v36, v72 dst_sel:DWORD dst_unused:UNUSED_PAD src0_sel:DWORD src1_sel:BYTE_0
	global_load_dwordx4 v[36:39], v52, s[8:9] offset:96
	s_mov_b32 s4, 0xe38f
	v_mul_u32_u24_sdwa v40, v57, s4 dst_sel:DWORD dst_unused:UNUSED_PAD src0_sel:WORD_0 src1_sel:DWORD
	v_lshrrev_b32_e32 v73, 19, v40
	v_mul_lo_u16_e32 v40, 9, v73
	v_sub_u16_e32 v74, v57, v40
	v_lshlrev_b32_e32 v59, 5, v74
	global_load_dwordx4 v[40:43], v59, s[8:9] offset:96
	global_load_dwordx4 v[44:47], v52, s[8:9] offset:112
	s_mov_b32 s7, 0x3febb67a
	global_load_dwordx4 v[59:62], v59, s[8:9] offset:112
	v_mul_u32_u24_e32 v71, 0xd8, v71
	s_waitcnt vmcnt(3) lgkmcnt(2)
	v_mul_f64 v[52:53], v[20:21], v[38:39]
	v_mul_f64 v[38:39], v[16:17], v[38:39]
	s_waitcnt vmcnt(2)
	v_mul_f64 v[54:55], v[22:23], v[42:43]
	v_mul_f64 v[42:43], v[18:19], v[42:43]
	v_fma_f64 v[16:17], v[16:17], v[36:37], v[52:53]
	v_fma_f64 v[20:21], v[20:21], v[36:37], -v[38:39]
	v_mul_u32_u24_sdwa v36, v56, s4 dst_sel:DWORD dst_unused:UNUSED_PAD src0_sel:WORD_0 src1_sel:DWORD
	v_lshrrev_b32_e32 v52, 19, v36
	v_mul_lo_u16_e32 v36, 9, v52
	v_sub_u16_e32 v75, v56, v36
	v_lshlrev_b32_e32 v36, 5, v75
	global_load_dwordx4 v[63:66], v36, s[8:9] offset:96
	global_load_dwordx4 v[67:70], v36, s[8:9] offset:112
	s_waitcnt vmcnt(3) lgkmcnt(0)
	v_mul_f64 v[36:37], v[8:9], v[46:47]
	v_mul_f64 v[38:39], v[12:13], v[46:47]
	v_fma_f64 v[18:19], v[18:19], v[40:41], v[54:55]
	v_fma_f64 v[22:23], v[22:23], v[40:41], -v[42:43]
	s_mov_b32 s4, 0xe8584caa
	s_mov_b32 s5, 0xbfebb67a
	;; [unrolled: 1-line block ×3, first 2 shown]
	v_mul_lo_u16_e32 v52, 27, v52
	v_fma_f64 v[40:41], v[12:13], v[44:45], v[36:37]
	v_fma_f64 v[36:37], v[8:9], v[44:45], -v[38:39]
	s_waitcnt vmcnt(2)
	v_mul_f64 v[8:9], v[10:11], v[61:62]
	v_mov_b32_e32 v12, 3
	v_lshlrev_b32_sdwa v55, v12, v72 dst_sel:DWORD dst_unused:UNUSED_PAD src0_sel:DWORD src1_sel:BYTE_0
	v_mul_u32_u24_e32 v72, 0xd8, v73
	v_add3_u32 v55, 0, v71, v55
	s_waitcnt vmcnt(0)
	s_barrier
	v_fma_f64 v[38:39], v[14:15], v[59:60], v[8:9]
	v_mul_f64 v[8:9], v[14:15], v[61:62]
	v_fma_f64 v[44:45], v[10:11], v[59:60], -v[8:9]
	v_add_f64 v[8:9], v[16:17], v[40:41]
	v_add_f64 v[10:11], v[18:19], v[38:39]
	v_mul_f64 v[12:13], v[34:35], v[65:66]
	v_mul_f64 v[14:15], v[28:29], v[69:70]
	v_fma_f64 v[42:43], v[30:31], v[63:64], v[12:13]
	v_mul_f64 v[12:13], v[30:31], v[65:66]
	v_fma_f64 v[30:31], v[32:33], v[67:68], v[14:15]
	v_mul_f64 v[14:15], v[32:33], v[69:70]
	v_add_f64 v[32:33], v[6:7], v[18:19]
	v_fma_f64 v[6:7], v[10:11], -0.5, v[6:7]
	v_lshlrev_b32_e32 v65, 3, v74
	v_add_f64 v[53:54], v[24:25], v[42:43]
	v_fma_f64 v[46:47], v[34:35], v[63:64], -v[12:13]
	v_add_f64 v[12:13], v[4:5], v[16:17]
	v_fma_f64 v[34:35], v[28:29], v[67:68], -v[14:15]
	v_add_f64 v[14:15], v[42:43], v[30:31]
	v_add_f64 v[28:29], v[20:21], -v[36:37]
	v_fma_f64 v[4:5], v[8:9], -0.5, v[4:5]
	v_add_f64 v[8:9], v[22:23], -v[44:45]
	v_add_f64 v[59:60], v[32:33], v[38:39]
	v_add_f64 v[12:13], v[12:13], v[40:41]
	v_add_f64 v[10:11], v[46:47], -v[34:35]
	v_fma_f64 v[14:15], v[14:15], -0.5, v[24:25]
	v_add_f64 v[24:25], v[53:54], v[30:31]
	v_fma_f64 v[61:62], v[28:29], s[4:5], v[4:5]
	v_fma_f64 v[4:5], v[28:29], s[6:7], v[4:5]
	;; [unrolled: 1-line block ×4, first 2 shown]
	v_add3_u32 v54, 0, v72, v65
	v_lshlrev_b32_e32 v53, 3, v75
	v_fma_f64 v[28:29], v[10:11], s[4:5], v[14:15]
	v_fma_f64 v[32:33], v[10:11], s[6:7], v[14:15]
	ds_write2_b64 v55, v[12:13], v[61:62] offset1:9
	ds_write_b64 v55, v[4:5] offset:144
	ds_write2_b64 v54, v[59:60], v[63:64] offset1:9
	ds_write_b64 v54, v[6:7] offset:144
	s_and_saveexec_b64 s[4:5], s[2:3]
	s_cbranch_execz .LBB0_31
; %bb.30:
	v_lshlrev_b32_e32 v4, 3, v52
	v_add3_u32 v4, 0, v53, v4
	ds_write2_b64 v4, v[24:25], v[28:29] offset1:9
	ds_write_b64 v4, v[32:33] offset:144
.LBB0_31:
	s_or_b64 exec, exec, s[4:5]
	v_add_u32_e32 v8, 0x1400, v49
	s_waitcnt lgkmcnt(0)
	s_barrier
	ds_read2_b64 v[12:15], v8 offset0:8 offset1:251
	v_add_u32_e32 v8, 0x2880, v49
	ds_read2_b64 v[4:7], v49 offset1:243
	ds_read2_b64 v[8:11], v8 offset1:243
	s_and_saveexec_b64 s[4:5], s[2:3]
	s_cbranch_execz .LBB0_33
; %bb.32:
	ds_read_b64 v[28:29], v49 offset:9072
	ds_read_b64 v[24:25], v58 offset:3888
	ds_read_b64 v[32:33], v49 offset:14256
.LBB0_33:
	s_or_b64 exec, exec, s[4:5]
	v_add_f64 v[59:60], v[20:21], v[36:37]
	v_add_f64 v[20:21], v[0:1], v[20:21]
	v_add_f64 v[16:17], v[16:17], -v[40:41]
	v_add_f64 v[40:41], v[22:23], v[44:45]
	v_add_f64 v[61:62], v[46:47], v[34:35]
	;; [unrolled: 1-line block ×3, first 2 shown]
	v_add_f64 v[18:19], v[18:19], -v[38:39]
	v_add_f64 v[38:39], v[26:27], v[46:47]
	v_fma_f64 v[0:1], v[59:60], -0.5, v[0:1]
	v_add_f64 v[20:21], v[20:21], v[36:37]
	s_mov_b32 s4, 0xe8584caa
	v_fma_f64 v[2:3], v[40:41], -0.5, v[2:3]
	v_add_f64 v[40:41], v[42:43], -v[30:31]
	v_fma_f64 v[36:37], v[61:62], -0.5, v[26:27]
	s_mov_b32 s5, 0x3febb67a
	s_mov_b32 s7, 0xbfebb67a
	;; [unrolled: 1-line block ×3, first 2 shown]
	v_fma_f64 v[42:43], v[16:17], s[4:5], v[0:1]
	v_add_f64 v[30:31], v[38:39], v[34:35]
	v_fma_f64 v[0:1], v[16:17], s[6:7], v[0:1]
	v_add_f64 v[16:17], v[22:23], v[44:45]
	v_fma_f64 v[26:27], v[40:41], s[4:5], v[36:37]
	v_fma_f64 v[34:35], v[40:41], s[6:7], v[36:37]
	;; [unrolled: 1-line block ×4, first 2 shown]
	s_waitcnt lgkmcnt(0)
	s_barrier
	ds_write2_b64 v55, v[20:21], v[42:43] offset1:9
	ds_write_b64 v55, v[0:1] offset:144
	ds_write2_b64 v54, v[16:17], v[22:23] offset1:9
	ds_write_b64 v54, v[2:3] offset:144
	s_and_saveexec_b64 s[4:5], s[2:3]
	s_cbranch_execz .LBB0_35
; %bb.34:
	v_lshlrev_b32_e32 v0, 3, v52
	v_add3_u32 v0, 0, v53, v0
	ds_write2_b64 v0, v[30:31], v[26:27] offset1:9
	ds_write_b64 v0, v[34:35] offset:144
.LBB0_35:
	s_or_b64 exec, exec, s[4:5]
	v_add_u32_e32 v16, 0x1400, v49
	v_add_u32_e32 v20, 0x2880, v49
	s_waitcnt lgkmcnt(0)
	s_barrier
	ds_read2_b64 v[0:3], v49 offset1:243
	ds_read2_b64 v[16:19], v16 offset0:8 offset1:251
	ds_read2_b64 v[20:23], v20 offset1:243
	s_and_saveexec_b64 s[4:5], s[2:3]
	s_cbranch_execz .LBB0_37
; %bb.36:
	ds_read_b64 v[26:27], v49 offset:9072
	ds_read_b64 v[30:31], v58 offset:3888
	;; [unrolled: 1-line block ×3, first 2 shown]
.LBB0_37:
	s_or_b64 exec, exec, s[4:5]
	v_mov_b32_e32 v36, 19
	v_mul_lo_u16_sdwa v36, v48, v36 dst_sel:DWORD dst_unused:UNUSED_PAD src0_sel:BYTE_0 src1_sel:DWORD
	v_lshrrev_b16_e32 v40, 9, v36
	v_mul_lo_u16_e32 v36, 27, v40
	v_sub_u16_e32 v41, v48, v36
	v_mov_b32_e32 v36, 5
	v_lshlrev_b32_sdwa v42, v36, v41 dst_sel:DWORD dst_unused:UNUSED_PAD src0_sel:DWORD src1_sel:BYTE_0
	s_movk_i32 s4, 0x2f69
	global_load_dwordx4 v[52:55], v42, s[8:9] offset:400
	global_load_dwordx4 v[36:39], v42, s[8:9] offset:384
	v_mul_u32_u24_sdwa v42, v57, s4 dst_sel:DWORD dst_unused:UNUSED_PAD src0_sel:WORD_0 src1_sel:DWORD
	v_sub_u16_sdwa v43, v57, v42 dst_sel:DWORD dst_unused:UNUSED_PAD src0_sel:DWORD src1_sel:WORD_1
	v_lshrrev_b16_e32 v43, 1, v43
	v_add_u16_sdwa v42, v43, v42 dst_sel:DWORD dst_unused:UNUSED_PAD src0_sel:DWORD src1_sel:WORD_1
	v_lshrrev_b16_e32 v42, 4, v42
	v_mul_lo_u16_e32 v43, 27, v42
	v_sub_u16_e32 v43, v57, v43
	v_lshlrev_b32_e32 v44, 5, v43
	global_load_dwordx4 v[59:62], v44, s[8:9] offset:400
	global_load_dwordx4 v[63:66], v44, s[8:9] offset:384
	v_mul_u32_u24_sdwa v44, v56, s4 dst_sel:DWORD dst_unused:UNUSED_PAD src0_sel:WORD_0 src1_sel:DWORD
	v_sub_u16_sdwa v45, v56, v44 dst_sel:DWORD dst_unused:UNUSED_PAD src0_sel:DWORD src1_sel:WORD_1
	v_lshrrev_b16_e32 v45, 1, v45
	v_add_u16_sdwa v44, v45, v44 dst_sel:DWORD dst_unused:UNUSED_PAD src0_sel:DWORD src1_sel:WORD_1
	v_lshrrev_b16_e32 v44, 4, v44
	v_mul_lo_u16_e32 v45, 27, v44
	v_sub_u16_e32 v79, v56, v45
	v_lshlrev_b32_e32 v45, 5, v79
	global_load_dwordx4 v[67:70], v45, s[8:9] offset:384
	global_load_dwordx4 v[71:74], v45, s[8:9] offset:400
	v_mov_b32_e32 v45, 3
	v_mul_u32_u24_e32 v40, 0x288, v40
	v_lshlrev_b32_sdwa v41, v45, v41 dst_sel:DWORD dst_unused:UNUSED_PAD src0_sel:DWORD src1_sel:BYTE_0
	v_add3_u32 v45, 0, v40, v41
	v_mul_u32_u24_e32 v80, 0x288, v42
	v_lshlrev_b32_e32 v81, 3, v43
	s_mov_b32 s6, 0xe8584caa
	s_mov_b32 s7, 0xbfebb67a
	;; [unrolled: 1-line block ×4, first 2 shown]
	s_waitcnt vmcnt(0) lgkmcnt(0)
	s_barrier
	v_mul_f64 v[42:43], v[20:21], v[54:55]
	v_mul_f64 v[40:41], v[16:17], v[38:39]
	;; [unrolled: 1-line block ×4, first 2 shown]
	v_fma_f64 v[42:43], v[8:9], v[52:53], v[42:43]
	v_mul_f64 v[75:76], v[22:23], v[61:62]
	v_mul_f64 v[54:55], v[18:19], v[65:66]
	v_fma_f64 v[38:39], v[16:17], v[36:37], -v[38:39]
	v_mul_f64 v[61:62], v[10:11], v[61:62]
	v_fma_f64 v[12:13], v[12:13], v[36:37], v[40:41]
	v_mul_f64 v[65:66], v[14:15], v[65:66]
	v_fma_f64 v[8:9], v[20:21], v[52:53], -v[46:47]
	v_fma_f64 v[40:41], v[10:11], v[59:60], v[75:76]
	v_mul_f64 v[16:17], v[26:27], v[69:70]
	v_mul_f64 v[77:78], v[34:35], v[73:74]
	v_fma_f64 v[36:37], v[14:15], v[63:64], v[54:55]
	v_mul_f64 v[14:15], v[28:29], v[69:70]
	v_mul_f64 v[54:55], v[32:33], v[73:74]
	v_fma_f64 v[10:11], v[22:23], v[59:60], -v[61:62]
	v_add_f64 v[22:23], v[12:13], v[42:43]
	v_fma_f64 v[18:19], v[18:19], v[63:64], -v[65:66]
	v_fma_f64 v[20:21], v[28:29], v[67:68], v[16:17]
	v_fma_f64 v[28:29], v[32:33], v[71:72], v[77:78]
	v_add_f64 v[32:33], v[4:5], v[12:13]
	v_fma_f64 v[14:15], v[26:27], v[67:68], -v[14:15]
	v_add_f64 v[26:27], v[36:37], v[40:41]
	v_fma_f64 v[16:17], v[34:35], v[71:72], -v[54:55]
	v_add_f64 v[46:47], v[38:39], -v[8:9]
	v_fma_f64 v[22:23], v[22:23], -0.5, v[4:5]
	v_add_f64 v[52:53], v[6:7], v[36:37]
	v_add_f64 v[34:35], v[20:21], v[28:29]
	v_add_f64 v[54:55], v[18:19], -v[10:11]
	v_add_f64 v[32:33], v[32:33], v[42:43]
	v_fma_f64 v[26:27], v[26:27], -0.5, v[6:7]
	v_add_f64 v[6:7], v[14:15], -v[16:17]
	v_fma_f64 v[59:60], v[46:47], s[6:7], v[22:23]
	v_fma_f64 v[22:23], v[46:47], s[4:5], v[22:23]
	v_fma_f64 v[4:5], v[34:35], -0.5, v[24:25]
	v_add_f64 v[52:53], v[52:53], v[40:41]
	v_add3_u32 v35, 0, v80, v81
	v_fma_f64 v[46:47], v[54:55], s[6:7], v[26:27]
	v_fma_f64 v[54:55], v[54:55], s[4:5], v[26:27]
	ds_write2_b64 v45, v[32:33], v[59:60] offset1:27
	ds_write_b64 v45, v[22:23] offset:432
	ds_write2_b64 v35, v[52:53], v[46:47] offset1:27
	ds_write_b64 v35, v[54:55] offset:432
	v_fma_f64 v[26:27], v[6:7], s[4:5], v[4:5]
	v_lshlrev_b32_e32 v23, 3, v79
	s_and_saveexec_b64 s[10:11], s[2:3]
	s_cbranch_execz .LBB0_39
; %bb.38:
	v_mul_f64 v[6:7], v[6:7], s[4:5]
	v_add_f64 v[24:25], v[24:25], v[20:21]
	v_mul_lo_u16_e32 v22, 0x51, v44
	v_lshlrev_b32_e32 v22, 3, v22
	v_add3_u32 v22, 0, v23, v22
	v_add_f64 v[4:5], v[4:5], -v[6:7]
	v_add_f64 v[6:7], v[24:25], v[28:29]
	ds_write2_b64 v22, v[6:7], v[4:5] offset1:27
	ds_write_b64 v22, v[26:27] offset:432
.LBB0_39:
	s_or_b64 exec, exec, s[10:11]
	v_add_f64 v[4:5], v[38:39], v[8:9]
	v_add_f64 v[24:25], v[14:15], v[16:17]
	;; [unrolled: 1-line block ×4, first 2 shown]
	v_add_f64 v[12:13], v[12:13], -v[42:43]
	v_add_f64 v[38:39], v[2:3], v[18:19]
	v_add_f64 v[20:21], v[20:21], -v[28:29]
	v_add_u32_e32 v22, 0x1680, v49
	v_fma_f64 v[0:1], v[4:5], -0.5, v[0:1]
	v_fma_f64 v[18:19], v[24:25], -0.5, v[30:31]
	v_add_f64 v[4:5], v[36:37], -v[40:41]
	v_fma_f64 v[2:3], v[6:7], -0.5, v[2:3]
	v_add_f64 v[24:25], v[32:33], v[8:9]
	v_add_f64 v[36:37], v[38:39], v[10:11]
	v_add_u32_e32 v34, 0x25c0, v49
	s_waitcnt lgkmcnt(0)
	v_fma_f64 v[38:39], v[12:13], s[4:5], v[0:1]
	v_fma_f64 v[28:29], v[20:21], s[6:7], v[18:19]
	v_fma_f64 v[40:41], v[12:13], s[6:7], v[0:1]
	v_fma_f64 v[42:43], v[4:5], s[4:5], v[2:3]
	v_fma_f64 v[46:47], v[4:5], s[6:7], v[2:3]
	s_barrier
	ds_read2_b64 v[0:3], v49 offset1:243
	ds_read2_b64 v[10:13], v22 offset0:9 offset1:252
	ds_read2_b64 v[4:7], v34 offset0:7 offset1:250
	ds_read_b64 v[32:33], v58 offset:3888
	ds_read_b64 v[8:9], v49 offset:13608
	s_waitcnt lgkmcnt(0)
	s_barrier
	ds_write2_b64 v45, v[24:25], v[38:39] offset1:27
	ds_write_b64 v45, v[40:41] offset:432
	ds_write2_b64 v35, v[36:37], v[42:43] offset1:27
	ds_write_b64 v35, v[46:47] offset:432
	s_and_saveexec_b64 s[6:7], s[2:3]
	s_cbranch_execz .LBB0_41
; %bb.40:
	v_add_f64 v[14:15], v[30:31], v[14:15]
	v_mul_f64 v[20:21], v[20:21], s[4:5]
	v_add_f64 v[14:15], v[14:15], v[16:17]
	v_add_f64 v[16:17], v[20:21], v[18:19]
	v_mul_lo_u16_e32 v18, 0x51, v44
	v_lshlrev_b32_e32 v18, 3, v18
	v_add3_u32 v18, 0, v23, v18
	ds_write2_b64 v18, v[14:15], v[16:17] offset1:27
	ds_write_b64 v18, v[28:29] offset:432
.LBB0_41:
	s_or_b64 exec, exec, s[6:7]
	s_movk_i32 s4, 0xcb
	v_mul_lo_u16_sdwa v14, v48, s4 dst_sel:DWORD dst_unused:UNUSED_PAD src0_sel:BYTE_0 src1_sel:DWORD
	v_lshrrev_b16_e32 v81, 14, v14
	v_mul_lo_u16_e32 v14, 0x51, v81
	v_sub_u16_e32 v82, v48, v14
	v_mov_b32_e32 v14, 7
	v_mul_u32_u24_sdwa v14, v82, v14 dst_sel:DWORD dst_unused:UNUSED_PAD src0_sel:BYTE_0 src1_sel:DWORD
	v_lshlrev_b32_e32 v18, 4, v14
	s_waitcnt lgkmcnt(0)
	s_barrier
	global_load_dwordx4 v[35:38], v18, s[8:9] offset:1264
	global_load_dwordx4 v[39:42], v18, s[8:9] offset:1248
	;; [unrolled: 1-line block ×7, first 2 shown]
	ds_read2_b64 v[18:21], v49 offset1:243
	ds_read_b64 v[30:31], v58 offset:3888
	ds_read2_b64 v[22:25], v22 offset0:9 offset1:252
	ds_read2_b64 v[67:70], v34 offset0:7 offset1:250
	ds_read_b64 v[71:72], v49 offset:13608
	s_mov_b32 s4, 0x667f3bcd
	s_mov_b32 s5, 0x3fe6a09e
	;; [unrolled: 1-line block ×4, first 2 shown]
	s_waitcnt vmcnt(0) lgkmcnt(0)
	s_barrier
	v_mul_f64 v[73:74], v[30:31], v[37:38]
	v_mul_f64 v[37:38], v[32:33], v[37:38]
	;; [unrolled: 1-line block ×7, first 2 shown]
	v_fma_f64 v[32:33], v[32:33], v[35:36], v[73:74]
	v_mul_f64 v[73:74], v[67:68], v[54:55]
	v_fma_f64 v[34:35], v[30:31], v[35:36], -v[37:38]
	v_mul_f64 v[30:31], v[69:70], v[61:62]
	v_mul_f64 v[36:37], v[6:7], v[61:62]
	v_mul_f64 v[61:62], v[71:72], v[65:66]
	v_fma_f64 v[10:11], v[10:11], v[43:44], v[77:78]
	v_fma_f64 v[43:44], v[22:23], v[43:44], -v[45:46]
	v_mul_f64 v[22:23], v[8:9], v[65:66]
	v_mul_f64 v[45:46], v[4:5], v[54:55]
	v_fma_f64 v[2:3], v[2:3], v[39:40], v[75:76]
	v_fma_f64 v[54:55], v[12:13], v[14:15], v[79:80]
	;; [unrolled: 1-line block ×4, first 2 shown]
	v_fma_f64 v[30:31], v[69:70], v[59:60], -v[36:37]
	v_fma_f64 v[8:9], v[8:9], v[63:64], v[61:62]
	v_fma_f64 v[36:37], v[71:72], v[63:64], -v[22:23]
	v_fma_f64 v[38:39], v[20:21], v[39:40], -v[41:42]
	;; [unrolled: 1-line block ×3, first 2 shown]
	v_add_f64 v[45:46], v[0:1], -v[54:55]
	v_add_f64 v[20:21], v[32:33], -v[6:7]
	v_add_f64 v[4:5], v[2:3], -v[4:5]
	v_add_f64 v[22:23], v[34:35], -v[30:31]
	v_add_f64 v[6:7], v[10:11], -v[8:9]
	v_add_f64 v[8:9], v[43:44], -v[36:37]
	v_mov_b32_e32 v59, 3
	v_add_f64 v[30:31], v[38:39], -v[40:41]
	v_fma_f64 v[0:1], v[0:1], 2.0, -v[45:46]
	v_fma_f64 v[32:33], v[32:33], 2.0, -v[20:21]
	;; [unrolled: 1-line block ×3, first 2 shown]
	v_add_f64 v[52:53], v[45:46], v[22:23]
	v_fma_f64 v[10:11], v[10:11], 2.0, -v[6:7]
	v_add_f64 v[62:63], v[4:5], v[8:9]
	v_fma_f64 v[8:9], v[43:44], 2.0, -v[8:9]
	v_fma_f64 v[38:39], v[38:39], 2.0, -v[30:31]
	v_add_f64 v[6:7], v[30:31], -v[6:7]
	v_add_f64 v[42:43], v[0:1], -v[32:33]
	v_add_u32_e32 v54, 0x1400, v49
	v_fma_f64 v[44:45], v[45:46], 2.0, -v[52:53]
	v_add_f64 v[36:37], v[2:3], -v[10:11]
	v_fma_f64 v[4:5], v[4:5], 2.0, -v[62:63]
	v_fma_f64 v[10:11], v[62:63], s[4:5], v[52:53]
	v_add_f64 v[40:41], v[38:39], -v[8:9]
	v_fma_f64 v[8:9], v[30:31], 2.0, -v[6:7]
	v_fma_f64 v[0:1], v[0:1], 2.0, -v[42:43]
	v_mul_u32_u24_e32 v30, 0x1440, v81
	v_lshlrev_b32_sdwa v31, v59, v82 dst_sel:DWORD dst_unused:UNUSED_PAD src0_sel:DWORD src1_sel:BYTE_0
	v_fma_f64 v[2:3], v[2:3], 2.0, -v[36:37]
	v_fma_f64 v[46:47], v[4:5], s[6:7], v[44:45]
	v_add3_u32 v59, 0, v30, v31
	v_add_f64 v[30:31], v[42:43], v[40:41]
	v_fma_f64 v[32:33], v[6:7], s[4:5], v[10:11]
	v_add_u32_e32 v61, 0xc00, v59
	v_add_u32_e32 v55, 0x2880, v49
	;; [unrolled: 1-line block ×3, first 2 shown]
	v_add_f64 v[2:3], v[0:1], -v[2:3]
	v_fma_f64 v[10:11], v[8:9], s[4:5], v[46:47]
	v_mul_f64 v[46:47], v[8:9], s[4:5]
	v_fma_f64 v[64:65], v[42:43], 2.0, -v[30:31]
	v_fma_f64 v[66:67], v[52:53], 2.0, -v[32:33]
	v_mul_f64 v[52:53], v[6:7], s[4:5]
	v_mul_f64 v[42:43], v[4:5], s[4:5]
	v_fma_f64 v[0:1], v[0:1], 2.0, -v[2:3]
	v_fma_f64 v[68:69], v[44:45], 2.0, -v[10:11]
	v_mul_f64 v[44:45], v[62:63], s[4:5]
	ds_write2_b64 v61, v[30:31], v[32:33] offset0:102 offset1:183
	ds_write2_b64 v59, v[64:65], v[66:67] offset0:162 offset1:243
	;; [unrolled: 1-line block ×3, first 2 shown]
	ds_write2_b64 v59, v[0:1], v[68:69] offset1:81
	s_waitcnt lgkmcnt(0)
	s_barrier
	ds_read2_b64 v[0:3], v49 offset1:243
	ds_read2_b64 v[4:7], v54 offset0:8 offset1:251
	ds_read2_b64 v[8:11], v55 offset1:243
	s_and_saveexec_b64 s[4:5], s[2:3]
	s_cbranch_execz .LBB0_43
; %bb.42:
	ds_read_b64 v[32:33], v49 offset:9072
	ds_read_b64 v[30:31], v58 offset:3888
	ds_read_b64 v[26:27], v49 offset:14256
.LBB0_43:
	s_or_b64 exec, exec, s[4:5]
	v_mul_f64 v[12:13], v[12:13], v[16:17]
	s_waitcnt lgkmcnt(0)
	s_barrier
	v_fma_f64 v[12:13], v[24:25], v[14:15], -v[12:13]
	v_fma_f64 v[14:15], v[34:35], 2.0, -v[22:23]
	v_add_f64 v[12:13], v[18:19], -v[12:13]
	v_fma_f64 v[16:17], v[18:19], 2.0, -v[12:13]
	v_add_f64 v[18:19], v[12:13], -v[20:21]
	;; [unrolled: 2-line block ×3, first 2 shown]
	v_fma_f64 v[12:13], v[12:13], 2.0, -v[18:19]
	v_add_f64 v[22:23], v[18:19], v[52:53]
	v_fma_f64 v[16:17], v[16:17], 2.0, -v[14:15]
	v_add_f64 v[38:39], v[12:13], -v[46:47]
	v_add_f64 v[24:25], v[14:15], -v[36:37]
	;; [unrolled: 1-line block ×5, first 2 shown]
	v_fma_f64 v[14:15], v[14:15], 2.0, -v[24:25]
	v_fma_f64 v[18:19], v[18:19], 2.0, -v[34:35]
	;; [unrolled: 1-line block ×4, first 2 shown]
	ds_write2_b64 v61, v[24:25], v[34:35] offset0:102 offset1:183
	ds_write2_b64 v59, v[14:15], v[18:19] offset0:162 offset1:243
	;; [unrolled: 1-line block ×3, first 2 shown]
	ds_write2_b64 v59, v[16:17], v[12:13] offset1:81
	s_waitcnt lgkmcnt(0)
	s_barrier
	ds_read2_b64 v[12:15], v49 offset1:243
	ds_read2_b64 v[16:19], v54 offset0:8 offset1:251
	ds_read2_b64 v[20:23], v55 offset1:243
	s_and_saveexec_b64 s[4:5], s[2:3]
	s_cbranch_execz .LBB0_45
; %bb.44:
	ds_read_b64 v[34:35], v49 offset:9072
	ds_read_b64 v[24:25], v58 offset:3888
	;; [unrolled: 1-line block ×3, first 2 shown]
.LBB0_45:
	s_or_b64 exec, exec, s[4:5]
	s_and_saveexec_b64 s[4:5], s[0:1]
	s_cbranch_execz .LBB0_48
; %bb.46:
	v_lshlrev_b32_e32 v36, 1, v57
	v_mov_b32_e32 v37, 0
	v_lshlrev_b64 v[38:39], 4, v[36:37]
	v_mov_b32_e32 v42, s9
	v_add_co_u32_e32 v36, vcc, s8, v38
	v_addc_co_u32_e32 v49, vcc, v42, v39, vcc
	v_add_co_u32_e32 v38, vcc, 0x2850, v36
	v_addc_co_u32_e32 v39, vcc, 0, v49, vcc
	v_add_co_u32_e32 v61, vcc, 0x2000, v36
	v_lshlrev_b32_e32 v36, 1, v48
	v_lshlrev_b64 v[40:41], 4, v[36:37]
	s_movk_i32 s4, 0x2850
	v_add_co_u32_e64 v36, s[0:1], s8, v40
	v_addc_co_u32_e64 v40, s[0:1], v42, v41, s[0:1]
	v_add_co_u32_e64 v52, s[0:1], s4, v36
	s_movk_i32 s6, 0x2000
	v_addc_co_u32_e64 v53, s[0:1], 0, v40, s[0:1]
	v_add_co_u32_e64 v54, s[0:1], s6, v36
	v_addc_co_u32_e64 v55, s[0:1], 0, v40, s[0:1]
	global_load_dwordx4 v[40:43], v[54:55], off offset:2128
	global_load_dwordx4 v[44:47], v[52:53], off offset:16
	v_addc_co_u32_e32 v62, vcc, 0, v49, vcc
	global_load_dwordx4 v[52:55], v[61:62], off offset:2128
	global_load_dwordx4 v[57:60], v[38:39], off offset:16
	v_mov_b32_e32 v36, s13
	v_add_co_u32_e32 v50, vcc, s12, v50
	v_addc_co_u32_e32 v36, vcc, v36, v51, vcc
	v_mov_b32_e32 v49, v37
	v_lshlrev_b64 v[38:39], 4, v[48:49]
	s_mov_b32 s0, 0xe8584caa
	v_add_co_u32_e32 v38, vcc, v50, v38
	v_addc_co_u32_e32 v39, vcc, v36, v39, vcc
	s_mov_b32 s1, 0xbfebb67a
	s_mov_b32 s5, 0x3febb67a
	s_mov_b32 s4, s0
	v_add_co_u32_e32 v49, vcc, s6, v38
	s_movk_i32 s7, 0x5000
	v_addc_co_u32_e32 v50, vcc, 0, v39, vcc
	v_add_co_u32_e32 v61, vcc, s7, v38
	v_addc_co_u32_e32 v62, vcc, 0, v39, vcc
	v_add_co_u32_e32 v63, vcc, 0x3000, v38
	v_addc_co_u32_e32 v64, vcc, 0, v39, vcc
	s_waitcnt vmcnt(3)
	v_mul_f64 v[65:66], v[4:5], v[42:43]
	s_waitcnt vmcnt(2)
	v_mul_f64 v[67:68], v[8:9], v[46:47]
	s_waitcnt lgkmcnt(1)
	v_mul_f64 v[42:43], v[16:17], v[42:43]
	s_waitcnt lgkmcnt(0)
	v_mul_f64 v[46:47], v[20:21], v[46:47]
	s_waitcnt vmcnt(1)
	v_mul_f64 v[69:70], v[6:7], v[54:55]
	s_waitcnt vmcnt(0)
	v_mul_f64 v[71:72], v[10:11], v[59:60]
	v_mul_f64 v[54:55], v[18:19], v[54:55]
	;; [unrolled: 1-line block ×3, first 2 shown]
	v_fma_f64 v[16:17], v[16:17], v[40:41], -v[65:66]
	v_fma_f64 v[20:21], v[20:21], v[44:45], -v[67:68]
	v_fma_f64 v[4:5], v[4:5], v[40:41], v[42:43]
	v_fma_f64 v[8:9], v[8:9], v[44:45], v[46:47]
	v_fma_f64 v[18:19], v[18:19], v[52:53], -v[69:70]
	v_fma_f64 v[22:23], v[22:23], v[57:58], -v[71:72]
	v_fma_f64 v[6:7], v[6:7], v[52:53], v[54:55]
	v_fma_f64 v[41:42], v[10:11], v[57:58], v[59:60]
	v_add_f64 v[45:46], v[12:13], v[16:17]
	v_add_f64 v[10:11], v[16:17], v[20:21]
	v_add_f64 v[16:17], v[16:17], -v[20:21]
	v_add_f64 v[51:52], v[4:5], v[8:9]
	v_add_f64 v[59:60], v[14:15], v[18:19]
	;; [unrolled: 1-line block ×3, first 2 shown]
	v_add_f64 v[65:66], v[18:19], -v[22:23]
	v_add_f64 v[18:19], v[6:7], v[41:42]
	v_add_f64 v[43:44], v[4:5], -v[8:9]
	v_add_f64 v[4:5], v[0:1], v[4:5]
	v_add_f64 v[67:68], v[2:3], v[6:7]
	v_add_f64 v[57:58], v[6:7], -v[41:42]
	v_fma_f64 v[12:13], v[10:11], -0.5, v[12:13]
	v_add_f64 v[6:7], v[45:46], v[20:21]
	v_fma_f64 v[20:21], v[51:52], -0.5, v[0:1]
	v_fma_f64 v[45:46], v[53:54], -0.5, v[14:15]
	;; [unrolled: 1-line block ×3, first 2 shown]
	v_add_f64 v[4:5], v[4:5], v[8:9]
	v_add_f64 v[10:11], v[59:60], v[22:23]
	;; [unrolled: 1-line block ×3, first 2 shown]
	v_fma_f64 v[2:3], v[43:44], s[0:1], v[12:13]
	v_fma_f64 v[14:15], v[43:44], s[4:5], v[12:13]
	;; [unrolled: 1-line block ×8, first 2 shown]
	v_add_co_u32_e32 v40, vcc, 0x6000, v38
	v_addc_co_u32_e32 v41, vcc, 0, v39, vcc
	global_store_dwordx4 v[38:39], v[4:7], off
	global_store_dwordx4 v[38:39], v[8:11], off offset:3888
	global_store_dwordx4 v[49:50], v[12:15], off offset:2176
	;; [unrolled: 1-line block ×5, first 2 shown]
	s_and_b64 exec, exec, s[2:3]
	s_cbranch_execz .LBB0_48
; %bb.47:
	v_add_u32_e32 v0, 0xffffff5e, v48
	v_cndmask_b32_e64 v0, v0, v56, s[2:3]
	v_lshlrev_b32_e32 v36, 1, v0
	v_lshlrev_b64 v[0:1], 4, v[36:37]
	v_mov_b32_e32 v2, s9
	v_add_co_u32_e32 v0, vcc, s8, v0
	v_addc_co_u32_e32 v1, vcc, v2, v1, vcc
	v_add_co_u32_e32 v8, vcc, 0x2850, v0
	v_addc_co_u32_e32 v9, vcc, 0, v1, vcc
	;; [unrolled: 2-line block ×3, first 2 shown]
	global_load_dwordx4 v[0:3], v[10:11], off offset:2128
	global_load_dwordx4 v[4:7], v[8:9], off offset:16
	v_add_co_u32_e32 v12, vcc, 0x1000, v38
	v_addc_co_u32_e32 v13, vcc, 0, v39, vcc
	v_add_co_u32_e32 v14, vcc, 0x4000, v38
	v_addc_co_u32_e32 v15, vcc, 0, v39, vcc
	s_waitcnt vmcnt(1)
	v_mul_f64 v[8:9], v[34:35], v[2:3]
	s_waitcnt vmcnt(0)
	v_mul_f64 v[10:11], v[28:29], v[6:7]
	v_mul_f64 v[2:3], v[32:33], v[2:3]
	;; [unrolled: 1-line block ×3, first 2 shown]
	v_fma_f64 v[8:9], v[32:33], v[0:1], v[8:9]
	v_fma_f64 v[10:11], v[26:27], v[4:5], v[10:11]
	v_fma_f64 v[0:1], v[34:35], v[0:1], -v[2:3]
	v_fma_f64 v[2:3], v[28:29], v[4:5], -v[6:7]
	v_add_f64 v[16:17], v[30:31], v[8:9]
	v_add_f64 v[4:5], v[8:9], v[10:11]
	;; [unrolled: 1-line block ×4, first 2 shown]
	v_add_f64 v[18:19], v[0:1], -v[2:3]
	v_add_f64 v[26:27], v[8:9], -v[10:11]
	v_add_f64 v[0:1], v[16:17], v[10:11]
	v_fma_f64 v[22:23], v[4:5], -0.5, v[30:31]
	v_add_f64 v[2:3], v[20:21], v[2:3]
	v_fma_f64 v[24:25], v[6:7], -0.5, v[24:25]
	v_add_co_u32_e32 v16, vcc, 0x6000, v38
	v_addc_co_u32_e32 v17, vcc, 0, v39, vcc
	v_fma_f64 v[4:5], v[18:19], s[0:1], v[22:23]
	v_fma_f64 v[8:9], v[18:19], s[4:5], v[22:23]
	;; [unrolled: 1-line block ×4, first 2 shown]
	global_store_dwordx4 v[12:13], v[0:3], off offset:3680
	global_store_dwordx4 v[14:15], v[4:7], off offset:1760
	;; [unrolled: 1-line block ×3, first 2 shown]
.LBB0_48:
	s_endpgm
	.section	.rodata,"a",@progbits
	.p2align	6, 0x0
	.amdhsa_kernel fft_rtc_back_len1944_factors_3_3_3_3_8_3_wgs_243_tpt_243_halfLds_dp_ip_CI_unitstride_sbrr_dirReg
		.amdhsa_group_segment_fixed_size 0
		.amdhsa_private_segment_fixed_size 0
		.amdhsa_kernarg_size 88
		.amdhsa_user_sgpr_count 6
		.amdhsa_user_sgpr_private_segment_buffer 1
		.amdhsa_user_sgpr_dispatch_ptr 0
		.amdhsa_user_sgpr_queue_ptr 0
		.amdhsa_user_sgpr_kernarg_segment_ptr 1
		.amdhsa_user_sgpr_dispatch_id 0
		.amdhsa_user_sgpr_flat_scratch_init 0
		.amdhsa_user_sgpr_private_segment_size 0
		.amdhsa_uses_dynamic_stack 0
		.amdhsa_system_sgpr_private_segment_wavefront_offset 0
		.amdhsa_system_sgpr_workgroup_id_x 1
		.amdhsa_system_sgpr_workgroup_id_y 0
		.amdhsa_system_sgpr_workgroup_id_z 0
		.amdhsa_system_sgpr_workgroup_info 0
		.amdhsa_system_vgpr_workitem_id 0
		.amdhsa_next_free_vgpr 84
		.amdhsa_next_free_sgpr 22
		.amdhsa_reserve_vcc 1
		.amdhsa_reserve_flat_scratch 0
		.amdhsa_float_round_mode_32 0
		.amdhsa_float_round_mode_16_64 0
		.amdhsa_float_denorm_mode_32 3
		.amdhsa_float_denorm_mode_16_64 3
		.amdhsa_dx10_clamp 1
		.amdhsa_ieee_mode 1
		.amdhsa_fp16_overflow 0
		.amdhsa_exception_fp_ieee_invalid_op 0
		.amdhsa_exception_fp_denorm_src 0
		.amdhsa_exception_fp_ieee_div_zero 0
		.amdhsa_exception_fp_ieee_overflow 0
		.amdhsa_exception_fp_ieee_underflow 0
		.amdhsa_exception_fp_ieee_inexact 0
		.amdhsa_exception_int_div_zero 0
	.end_amdhsa_kernel
	.text
.Lfunc_end0:
	.size	fft_rtc_back_len1944_factors_3_3_3_3_8_3_wgs_243_tpt_243_halfLds_dp_ip_CI_unitstride_sbrr_dirReg, .Lfunc_end0-fft_rtc_back_len1944_factors_3_3_3_3_8_3_wgs_243_tpt_243_halfLds_dp_ip_CI_unitstride_sbrr_dirReg
                                        ; -- End function
	.section	.AMDGPU.csdata,"",@progbits
; Kernel info:
; codeLenInByte = 7536
; NumSgprs: 26
; NumVgprs: 84
; ScratchSize: 0
; MemoryBound: 1
; FloatMode: 240
; IeeeMode: 1
; LDSByteSize: 0 bytes/workgroup (compile time only)
; SGPRBlocks: 3
; VGPRBlocks: 20
; NumSGPRsForWavesPerEU: 26
; NumVGPRsForWavesPerEU: 84
; Occupancy: 3
; WaveLimiterHint : 1
; COMPUTE_PGM_RSRC2:SCRATCH_EN: 0
; COMPUTE_PGM_RSRC2:USER_SGPR: 6
; COMPUTE_PGM_RSRC2:TRAP_HANDLER: 0
; COMPUTE_PGM_RSRC2:TGID_X_EN: 1
; COMPUTE_PGM_RSRC2:TGID_Y_EN: 0
; COMPUTE_PGM_RSRC2:TGID_Z_EN: 0
; COMPUTE_PGM_RSRC2:TIDIG_COMP_CNT: 0
	.type	__hip_cuid_eb1d07e516aa06ae,@object ; @__hip_cuid_eb1d07e516aa06ae
	.section	.bss,"aw",@nobits
	.globl	__hip_cuid_eb1d07e516aa06ae
__hip_cuid_eb1d07e516aa06ae:
	.byte	0                               ; 0x0
	.size	__hip_cuid_eb1d07e516aa06ae, 1

	.ident	"AMD clang version 19.0.0git (https://github.com/RadeonOpenCompute/llvm-project roc-6.4.0 25133 c7fe45cf4b819c5991fe208aaa96edf142730f1d)"
	.section	".note.GNU-stack","",@progbits
	.addrsig
	.addrsig_sym __hip_cuid_eb1d07e516aa06ae
	.amdgpu_metadata
---
amdhsa.kernels:
  - .args:
      - .actual_access:  read_only
        .address_space:  global
        .offset:         0
        .size:           8
        .value_kind:     global_buffer
      - .offset:         8
        .size:           8
        .value_kind:     by_value
      - .actual_access:  read_only
        .address_space:  global
        .offset:         16
        .size:           8
        .value_kind:     global_buffer
      - .actual_access:  read_only
        .address_space:  global
        .offset:         24
        .size:           8
        .value_kind:     global_buffer
      - .offset:         32
        .size:           8
        .value_kind:     by_value
      - .actual_access:  read_only
        .address_space:  global
        .offset:         40
        .size:           8
        .value_kind:     global_buffer
      - .actual_access:  read_only
        .address_space:  global
        .offset:         48
        .size:           8
        .value_kind:     global_buffer
      - .offset:         56
        .size:           4
        .value_kind:     by_value
      - .actual_access:  read_only
        .address_space:  global
        .offset:         64
        .size:           8
        .value_kind:     global_buffer
      - .actual_access:  read_only
        .address_space:  global
        .offset:         72
        .size:           8
        .value_kind:     global_buffer
      - .address_space:  global
        .offset:         80
        .size:           8
        .value_kind:     global_buffer
    .group_segment_fixed_size: 0
    .kernarg_segment_align: 8
    .kernarg_segment_size: 88
    .language:       OpenCL C
    .language_version:
      - 2
      - 0
    .max_flat_workgroup_size: 243
    .name:           fft_rtc_back_len1944_factors_3_3_3_3_8_3_wgs_243_tpt_243_halfLds_dp_ip_CI_unitstride_sbrr_dirReg
    .private_segment_fixed_size: 0
    .sgpr_count:     26
    .sgpr_spill_count: 0
    .symbol:         fft_rtc_back_len1944_factors_3_3_3_3_8_3_wgs_243_tpt_243_halfLds_dp_ip_CI_unitstride_sbrr_dirReg.kd
    .uniform_work_group_size: 1
    .uses_dynamic_stack: false
    .vgpr_count:     84
    .vgpr_spill_count: 0
    .wavefront_size: 64
amdhsa.target:   amdgcn-amd-amdhsa--gfx906
amdhsa.version:
  - 1
  - 2
...

	.end_amdgpu_metadata
